;; amdgpu-corpus repo=ROCm/rocm-examples kind=compiled arch=gfx950 opt=O3
	.amdgcn_target "amdgcn-amd-amdhsa--gfx950"
	.amdhsa_code_object_version 6
	.text
	.protected	_Z15sgemv_rocwmma_djjjPKfS0_PfS1_jjjjff ; -- Begin function _Z15sgemv_rocwmma_djjjPKfS0_PfS1_jjjjff
	.globl	_Z15sgemv_rocwmma_djjjPKfS0_PfS1_jjjjff
	.p2align	8
	.type	_Z15sgemv_rocwmma_djjjPKfS0_PfS1_jjjjff,@function
_Z15sgemv_rocwmma_djjjPKfS0_PfS1_jjjjff: ; @_Z15sgemv_rocwmma_djjjPKfS0_PfS1_jjjjff
; %bb.0:
	s_load_dword s3, s[0:1], 0x54
	s_load_dword s4, s[0:1], 0x0
	s_waitcnt lgkmcnt(0)
	s_and_b32 s3, s3, 0xffff
	s_mul_i32 s2, s2, s3
	v_add_u32_e32 v1, s2, v0
	v_lshrrev_b32_e32 v1, 2, v1
	v_and_b32_e32 v5, 0x3ffffff0, v1
	v_cmp_gt_u32_e32 vcc, s4, v5
	s_and_saveexec_b64 s[2:3], vcc
	s_cbranch_execz .LBB0_6
; %bb.1:
	s_load_dword s2, s[0:1], 0x8
	s_load_dwordx8 s[4:11], s[0:1], 0x10
	s_load_dwordx4 s[12:15], s[0:1], 0x30
	v_and_b32_e32 v4, 15, v0
	v_lshrrev_b32_e32 v0, 2, v0
	s_mov_b32 s3, 0
	s_waitcnt lgkmcnt(0)
	s_cmp_eq_u32 s2, 0
	v_and_b32_e32 v6, 12, v0
	s_cbranch_scc1 .LBB0_4
; %bb.2:
	v_mov_b32_e32 v0, s6
	v_mov_b32_e32 v1, s7
	v_mad_u64_u32 v[8:9], s[6:7], s12, v6, v[4:5]
	v_mov_b32_e32 v11, 0
	v_mad_u64_u32 v[2:3], s[6:7], s13, v4, v[6:7]
	v_add_u32_e32 v12, s12, v8
	v_mov_b32_e32 v3, v11
	v_add_u32_e32 v14, s12, v12
	v_lshl_add_u64 v[0:1], v[2:3], 2, v[0:1]
	v_mov_b32_e32 v9, v11
	v_mov_b32_e32 v13, v11
	;; [unrolled: 1-line block ×3, first 2 shown]
	v_add_u32_e32 v16, s12, v14
	v_mov_b32_e32 v17, v11
	v_lshl_add_u64 v[18:19], v[0:1], 0, 8
	s_lshl_b32 s6, s12, 4
	v_mov_b32_e32 v10, v5
	v_mov_b32_e32 v0, v11
	;; [unrolled: 1-line block ×4, first 2 shown]
.LBB0_3:                                ; =>This Inner Loop Header: Depth=1
	v_lshl_add_u64 v[24:25], v[10:11], 2, s[4:5]
	v_lshl_add_u64 v[26:27], v[8:9], 2, v[24:25]
	global_load_dword v7, v[26:27], off
	global_load_dwordx4 v[20:23], v[18:19], off offset:-8
	v_lshl_add_u64 v[26:27], v[12:13], 2, v[24:25]
	global_load_dword v28, v[26:27], off
	v_lshl_add_u64 v[26:27], v[14:15], 2, v[24:25]
	global_load_dword v26, v[26:27], off
	;; [unrolled: 2-line block ×3, first 2 shown]
	s_add_i32 s3, s3, 16
	v_lshl_add_u64 v[18:19], v[18:19], 0, 64
	s_cmp_ge_u32 s3, s2
	v_add_u32_e32 v10, s6, v10
	s_waitcnt vmcnt(3)
	v_mfma_f32_16x16x4_f32 v[0:3], v7, v20, v[0:3]
	s_waitcnt vmcnt(2)
	v_mfma_f32_16x16x4_f32 v[0:3], v28, v21, v[0:3]
	;; [unrolled: 2-line block ×4, first 2 shown]
	s_cbranch_scc0 .LBB0_3
	s_branch .LBB0_5
.LBB0_4:
	v_mov_b32_e32 v3, 0
	v_mov_b32_e32 v2, v3
	;; [unrolled: 1-line block ×4, first 2 shown]
.LBB0_5:
	v_lshlrev_b32_e32 v8, 2, v5
	v_mov_b32_e32 v9, 0
	v_mad_u64_u32 v[4:5], s[2:3], s14, v4, v[6:7]
	v_mov_b32_e32 v5, v9
	v_lshl_add_u64 v[10:11], s[8:9], 0, v[8:9]
	v_lshlrev_b64 v[12:13], 2, v[4:5]
	v_lshl_add_u64 v[4:5], v[10:11], 0, v[12:13]
	global_load_dwordx4 v[4:7], v[4:5], off
	s_load_dwordx2 s[0:1], s[0:1], 0x40
	v_lshl_add_u64 v[8:9], s[10:11], 0, v[8:9]
	s_waitcnt vmcnt(0) lgkmcnt(0)
	v_pk_mul_f32 v[6:7], s[0:1], v[6:7] op_sel:[1,0]
	v_pk_mul_f32 v[4:5], s[0:1], v[4:5] op_sel:[1,0]
	v_pk_fma_f32 v[2:3], s[0:1], v[2:3], v[6:7] op_sel_hi:[0,1,1]
	v_pk_fma_f32 v[0:1], s[0:1], v[0:1], v[4:5] op_sel_hi:[0,1,1]
	v_lshl_add_u64 v[4:5], v[8:9], 0, v[12:13]
	global_store_dwordx4 v[4:5], v[0:3], off
.LBB0_6:
	s_endpgm
	.section	.rodata,"a",@progbits
	.p2align	6, 0x0
	.amdhsa_kernel _Z15sgemv_rocwmma_djjjPKfS0_PfS1_jjjjff
		.amdhsa_group_segment_fixed_size 0
		.amdhsa_private_segment_fixed_size 0
		.amdhsa_kernarg_size 328
		.amdhsa_user_sgpr_count 2
		.amdhsa_user_sgpr_dispatch_ptr 0
		.amdhsa_user_sgpr_queue_ptr 0
		.amdhsa_user_sgpr_kernarg_segment_ptr 1
		.amdhsa_user_sgpr_dispatch_id 0
		.amdhsa_user_sgpr_kernarg_preload_length 0
		.amdhsa_user_sgpr_kernarg_preload_offset 0
		.amdhsa_user_sgpr_private_segment_size 0
		.amdhsa_uses_dynamic_stack 0
		.amdhsa_enable_private_segment 0
		.amdhsa_system_sgpr_workgroup_id_x 1
		.amdhsa_system_sgpr_workgroup_id_y 0
		.amdhsa_system_sgpr_workgroup_id_z 0
		.amdhsa_system_sgpr_workgroup_info 0
		.amdhsa_system_vgpr_workitem_id 0
		.amdhsa_next_free_vgpr 29
		.amdhsa_next_free_sgpr 16
		.amdhsa_accum_offset 32
		.amdhsa_reserve_vcc 1
		.amdhsa_float_round_mode_32 0
		.amdhsa_float_round_mode_16_64 0
		.amdhsa_float_denorm_mode_32 3
		.amdhsa_float_denorm_mode_16_64 3
		.amdhsa_dx10_clamp 1
		.amdhsa_ieee_mode 1
		.amdhsa_fp16_overflow 0
		.amdhsa_tg_split 0
		.amdhsa_exception_fp_ieee_invalid_op 0
		.amdhsa_exception_fp_denorm_src 0
		.amdhsa_exception_fp_ieee_div_zero 0
		.amdhsa_exception_fp_ieee_overflow 0
		.amdhsa_exception_fp_ieee_underflow 0
		.amdhsa_exception_fp_ieee_inexact 0
		.amdhsa_exception_int_div_zero 0
	.end_amdhsa_kernel
	.text
.Lfunc_end0:
	.size	_Z15sgemv_rocwmma_djjjPKfS0_PfS1_jjjjff, .Lfunc_end0-_Z15sgemv_rocwmma_djjjPKfS0_PfS1_jjjjff
                                        ; -- End function
	.set _Z15sgemv_rocwmma_djjjPKfS0_PfS1_jjjjff.num_vgpr, 29
	.set _Z15sgemv_rocwmma_djjjPKfS0_PfS1_jjjjff.num_agpr, 0
	.set _Z15sgemv_rocwmma_djjjPKfS0_PfS1_jjjjff.numbered_sgpr, 16
	.set _Z15sgemv_rocwmma_djjjPKfS0_PfS1_jjjjff.num_named_barrier, 0
	.set _Z15sgemv_rocwmma_djjjPKfS0_PfS1_jjjjff.private_seg_size, 0
	.set _Z15sgemv_rocwmma_djjjPKfS0_PfS1_jjjjff.uses_vcc, 1
	.set _Z15sgemv_rocwmma_djjjPKfS0_PfS1_jjjjff.uses_flat_scratch, 0
	.set _Z15sgemv_rocwmma_djjjPKfS0_PfS1_jjjjff.has_dyn_sized_stack, 0
	.set _Z15sgemv_rocwmma_djjjPKfS0_PfS1_jjjjff.has_recursion, 0
	.set _Z15sgemv_rocwmma_djjjPKfS0_PfS1_jjjjff.has_indirect_call, 0
	.section	.AMDGPU.csdata,"",@progbits
; Kernel info:
; codeLenInByte = 504
; TotalNumSgprs: 22
; NumVgprs: 29
; NumAgprs: 0
; TotalNumVgprs: 29
; ScratchSize: 0
; MemoryBound: 0
; FloatMode: 240
; IeeeMode: 1
; LDSByteSize: 0 bytes/workgroup (compile time only)
; SGPRBlocks: 2
; VGPRBlocks: 3
; NumSGPRsForWavesPerEU: 22
; NumVGPRsForWavesPerEU: 29
; AccumOffset: 32
; Occupancy: 8
; WaveLimiterHint : 0
; COMPUTE_PGM_RSRC2:SCRATCH_EN: 0
; COMPUTE_PGM_RSRC2:USER_SGPR: 2
; COMPUTE_PGM_RSRC2:TRAP_HANDLER: 0
; COMPUTE_PGM_RSRC2:TGID_X_EN: 1
; COMPUTE_PGM_RSRC2:TGID_Y_EN: 0
; COMPUTE_PGM_RSRC2:TGID_Z_EN: 0
; COMPUTE_PGM_RSRC2:TIDIG_COMP_CNT: 0
; COMPUTE_PGM_RSRC3_GFX90A:ACCUM_OFFSET: 7
; COMPUTE_PGM_RSRC3_GFX90A:TG_SPLIT: 0
	.text
	.p2alignl 6, 3212836864
	.fill 256, 4, 3212836864
	.section	.AMDGPU.gpr_maximums,"",@progbits
	.set amdgpu.max_num_vgpr, 0
	.set amdgpu.max_num_agpr, 0
	.set amdgpu.max_num_sgpr, 0
	.text
	.type	__hip_cuid_3e9655500c765b7,@object ; @__hip_cuid_3e9655500c765b7
	.section	.bss,"aw",@nobits
	.globl	__hip_cuid_3e9655500c765b7
__hip_cuid_3e9655500c765b7:
	.byte	0                               ; 0x0
	.size	__hip_cuid_3e9655500c765b7, 1

	.ident	"AMD clang version 22.0.0git (https://github.com/RadeonOpenCompute/llvm-project roc-7.2.4 26084 f58b06dce1f9c15707c5f808fd002e18c2accf7e)"
	.section	".note.GNU-stack","",@progbits
	.addrsig
	.addrsig_sym __hip_cuid_3e9655500c765b7
	.amdgpu_metadata
---
amdhsa.kernels:
  - .agpr_count:     0
    .args:
      - .offset:         0
        .size:           4
        .value_kind:     by_value
      - .offset:         4
        .size:           4
        .value_kind:     by_value
      - .offset:         8
        .size:           4
        .value_kind:     by_value
      - .address_space:  global
        .offset:         16
        .size:           8
        .value_kind:     global_buffer
      - .address_space:  global
        .offset:         24
        .size:           8
        .value_kind:     global_buffer
      - .address_space:  global
        .offset:         32
        .size:           8
        .value_kind:     global_buffer
      - .address_space:  global
        .offset:         40
        .size:           8
        .value_kind:     global_buffer
      - .offset:         48
        .size:           4
        .value_kind:     by_value
      - .offset:         52
        .size:           4
        .value_kind:     by_value
      - .offset:         56
        .size:           4
        .value_kind:     by_value
      - .offset:         60
        .size:           4
        .value_kind:     by_value
      - .offset:         64
        .size:           4
        .value_kind:     by_value
      - .offset:         68
        .size:           4
        .value_kind:     by_value
      - .offset:         72
        .size:           4
        .value_kind:     hidden_block_count_x
      - .offset:         76
        .size:           4
        .value_kind:     hidden_block_count_y
      - .offset:         80
        .size:           4
        .value_kind:     hidden_block_count_z
      - .offset:         84
        .size:           2
        .value_kind:     hidden_group_size_x
      - .offset:         86
        .size:           2
        .value_kind:     hidden_group_size_y
      - .offset:         88
        .size:           2
        .value_kind:     hidden_group_size_z
      - .offset:         90
        .size:           2
        .value_kind:     hidden_remainder_x
      - .offset:         92
        .size:           2
        .value_kind:     hidden_remainder_y
      - .offset:         94
        .size:           2
        .value_kind:     hidden_remainder_z
      - .offset:         112
        .size:           8
        .value_kind:     hidden_global_offset_x
      - .offset:         120
        .size:           8
        .value_kind:     hidden_global_offset_y
      - .offset:         128
        .size:           8
        .value_kind:     hidden_global_offset_z
      - .offset:         136
        .size:           2
        .value_kind:     hidden_grid_dims
    .group_segment_fixed_size: 0
    .kernarg_segment_align: 8
    .kernarg_segment_size: 328
    .language:       OpenCL C
    .language_version:
      - 2
      - 0
    .max_flat_workgroup_size: 1024
    .name:           _Z15sgemv_rocwmma_djjjPKfS0_PfS1_jjjjff
    .private_segment_fixed_size: 0
    .sgpr_count:     22
    .sgpr_spill_count: 0
    .symbol:         _Z15sgemv_rocwmma_djjjPKfS0_PfS1_jjjjff.kd
    .uniform_work_group_size: 1
    .uses_dynamic_stack: false
    .vgpr_count:     29
    .vgpr_spill_count: 0
    .wavefront_size: 64
amdhsa.target:   amdgcn-amd-amdhsa--gfx950
amdhsa.version:
  - 1
  - 2
...

	.end_amdgpu_metadata
